;; amdgpu-corpus repo=ROCm/rocFFT kind=compiled arch=gfx1030 opt=O3
	.text
	.amdgcn_target "amdgcn-amd-amdhsa--gfx1030"
	.amdhsa_code_object_version 6
	.protected	fft_rtc_fwd_len17_factors_17_wgs_120_tpt_1_half_op_CI_CI_sbrc_erc_z_xy_aligned ; -- Begin function fft_rtc_fwd_len17_factors_17_wgs_120_tpt_1_half_op_CI_CI_sbrc_erc_z_xy_aligned
	.globl	fft_rtc_fwd_len17_factors_17_wgs_120_tpt_1_half_op_CI_CI_sbrc_erc_z_xy_aligned
	.p2align	8
	.type	fft_rtc_fwd_len17_factors_17_wgs_120_tpt_1_half_op_CI_CI_sbrc_erc_z_xy_aligned,@function
fft_rtc_fwd_len17_factors_17_wgs_120_tpt_1_half_op_CI_CI_sbrc_erc_z_xy_aligned: ; @fft_rtc_fwd_len17_factors_17_wgs_120_tpt_1_half_op_CI_CI_sbrc_erc_z_xy_aligned
; %bb.0:
	s_clause 0x1
	s_load_dwordx8 s[8:15], s[4:5], 0x8
	s_load_dwordx4 s[0:3], s[4:5], 0x58
	v_mul_u32_u24_e32 v1, 0xf10, v0
	v_mov_b32_e32 v21, 0xf10
	v_add_nc_u16 v5, v0, 0x168
	v_add_nc_u16 v3, v0, 0x78
	;; [unrolled: 1-line block ×3, first 2 shown]
	v_lshrrev_b32_e32 v22, 16, v1
	v_add_nc_u16 v6, v0, 0x1e0
	v_mul_u32_u24_sdwa v10, v5, v21 dst_sel:DWORD dst_unused:UNUSED_PAD src0_sel:WORD_0 src1_sel:DWORD
	v_mul_u32_u24_sdwa v8, v3, v21 dst_sel:DWORD dst_unused:UNUSED_PAD src0_sel:WORD_0 src1_sel:DWORD
	v_add_nc_u16 v7, v0, 0x258
	v_mul_u32_u24_sdwa v9, v4, v21 dst_sel:DWORD dst_unused:UNUSED_PAD src0_sel:WORD_0 src1_sel:DWORD
	v_add_nc_u16 v34, v0, 0x2d0
	v_lshrrev_b32_e32 v23, 16, v10
	v_lshrrev_b32_e32 v27, 16, v8
	v_mul_u32_u24_sdwa v11, v6, v21 dst_sel:DWORD dst_unused:UNUSED_PAD src0_sel:WORD_0 src1_sel:DWORD
	v_mul_u32_u24_sdwa v12, v7, v21 dst_sel:DWORD dst_unused:UNUSED_PAD src0_sel:WORD_0 src1_sel:DWORD
	v_mul_lo_u16 v14, v22, 17
	v_lshrrev_b32_e32 v24, 16, v9
	s_waitcnt lgkmcnt(0)
	s_load_dwordx4 s[16:19], s[10:11], 0x8
	s_load_dwordx4 s[20:23], s[12:13], 0x0
	s_waitcnt lgkmcnt(0)
	s_load_dword s23, s[12:13], 0x10
	v_mul_lo_u16 v9, v27, 17
	v_mul_u32_u24_sdwa v13, v34, v21 dst_sel:DWORD dst_unused:UNUSED_PAD src0_sel:WORD_0 src1_sel:DWORD
	v_lshrrev_b32_e32 v25, 16, v11
	v_lshrrev_b32_e32 v26, 16, v12
	v_sub_nc_u16 v8, v0, v14
	v_sub_nc_u16 v3, v3, v9
	v_mul_lo_u16 v11, v24, 17
	v_mul_lo_u16 v12, v23, 17
	v_lshrrev_b32_e32 v28, 16, v13
	v_mul_lo_u16 v13, v25, 17
	v_mul_lo_u16 v14, v26, 17
	v_and_b32_e32 v29, 0xffff, v8
	v_and_b32_e32 v30, 0xffff, v3
	v_mov_b32_e32 v2, 0
	s_mov_b32 s7, 0
	v_mul_lo_u16 v36, v28, 17
	v_add_nc_u16 v44, v0, 0x5a0
	s_add_i32 s4, s16, -1
	v_mad_u64_u32 v[15:16], null, s20, v30, 0
	s_mul_hi_u32 s4, s4, 0x88888889
	v_mul_u32_u24_sdwa v45, v44, v21 dst_sel:DWORD dst_unused:UNUSED_PAD src0_sel:WORD_0 src1_sel:DWORD
	s_lshr_b32 s4, s4, 6
	v_add_nc_u16 v47, v0, 0x618
	s_add_i32 s5, s4, 1
	v_add_nc_u16 v49, v0, 0x690
	s_mul_i32 s10, s5, s18
	v_cvt_f32_u32_e32 v10, s5
	v_cvt_f32_u32_e32 v1, s10
	s_sub_i32 s16, 0, s10
	v_mov_b32_e32 v8, v16
	v_lshrrev_b32_e32 v66, 16, v45
	v_rcp_iflag_f32_e32 v10, v10
	v_rcp_iflag_f32_e32 v1, v1
	v_mul_u32_u24_sdwa v48, v49, v21 dst_sel:DWORD dst_unused:UNUSED_PAD src0_sel:WORD_0 src1_sel:DWORD
	v_add_nc_u16 v50, v0, 0x708
	v_or_b32_e32 v52, 0x780, v0
	v_lshrrev_b32_e32 v71, 16, v48
	v_mul_f32_e32 v1, 0x4f7ffffe, v1
	v_cvt_u32_f32_e32 v1, v1
	v_readfirstlane_b32 s11, v1
	v_mul_f32_e32 v1, 0x4f7ffffe, v10
	s_mul_i32 s24, s16, s11
	s_load_dwordx4 s[16:19], s[14:15], 0x0
	s_waitcnt lgkmcnt(0)
	s_mul_hi_u32 s19, s11, s24
	v_cvt_u32_f32_e32 v1, v1
	s_add_i32 s11, s11, s19
	s_mul_hi_u32 s11, s6, s11
	s_mul_i32 s19, s11, s10
	s_add_i32 s24, s11, 1
	s_sub_i32 s19, s6, s19
	v_readfirstlane_b32 s26, v1
	s_sub_i32 s25, s19, s10
	s_cmp_ge_u32 s19, s10
	v_sub_nc_u16 v1, v4, v11
	s_cselect_b32 s11, s24, s11
	s_cselect_b32 s19, s25, s19
	s_add_i32 s24, s11, 1
	s_cmp_ge_u32 s19, s10
	v_sub_nc_u16 v4, v5, v12
	s_cselect_b32 s19, s24, s11
	s_not_b32 s4, s4
	s_mul_i32 s10, s19, s10
	s_mul_i32 s4, s4, s26
	s_sub_i32 s10, s6, s10
	s_mul_hi_u32 s4, s26, s4
	v_sub_nc_u16 v5, v6, v13
	s_add_i32 s26, s26, s4
	v_sub_nc_u16 v6, v7, v14
	s_mul_hi_u32 s4, s10, s26
	s_mul_hi_u32 s25, s6, s26
	s_mul_i32 s11, s4, s5
	s_mul_i32 s25, s25, s5
	s_sub_i32 s10, s10, s11
	s_add_i32 s11, s4, 1
	s_sub_i32 s24, s10, s5
	s_cmp_ge_u32 s10, s5
	v_mad_u64_u32 v[13:14], null, s20, v29, 0
	s_cselect_b32 s4, s11, s4
	s_cselect_b32 s10, s24, s10
	s_add_i32 s11, s4, 1
	s_cmp_ge_u32 s10, s5
	v_and_b32_e32 v31, 0xffff, v1
	s_cselect_b32 s4, s11, s4
	s_sub_i32 s6, s6, s25
	v_and_b32_e32 v32, 0xffff, v4
	s_sub_i32 s10, s6, s5
	s_cmp_ge_u32 s6, s5
	v_mul_lo_u32 v1, s22, v22
	s_cselect_b32 s6, s10, s6
	v_mad_u64_u32 v[37:38], null, s20, v31, 0
	s_sub_i32 s10, s6, s5
	s_cmp_ge_u32 s6, s5
	v_mad_u64_u32 v[39:40], null, s20, v32, 0
	s_cselect_b32 s5, s10, s6
	s_mul_i32 s6, s4, s23
	s_mul_i32 s23, s5, 0x78
	s_lshl_b64 s[8:9], s[8:9], 3
	s_mul_i32 s5, s23, s22
	s_mul_i32 s10, s17, s23
	s_mul_hi_u32 s11, s16, s23
	s_add_i32 s6, s5, s6
	s_add_i32 s5, s11, s10
	s_add_u32 s10, s12, s8
	s_addc_u32 s11, s13, s9
	v_mov_b32_e32 v7, v14
	s_load_dwordx2 s[10:11], s[10:11], 0x0
	v_and_b32_e32 v33, 0xffff, v5
	v_and_b32_e32 v35, 0xffff, v6
	v_lshlrev_b64 v[5:6], 2, v[1:2]
	v_mul_lo_u32 v1, s22, v27
	v_mad_u64_u32 v[11:12], null, s21, v29, v[7:8]
	v_mad_u64_u32 v[3:4], null, s20, v33, 0
	v_mov_b32_e32 v9, v38
	v_mov_b32_e32 v10, v40
	;; [unrolled: 1-line block ×3, first 2 shown]
	v_mad_u64_u32 v[16:17], null, s21, v30, v[8:9]
	v_mad_u64_u32 v[17:18], null, s21, v31, v[9:10]
	v_lshlrev_b64 v[7:8], 2, v[1:2]
	v_mul_lo_u32 v1, s22, v24
	s_waitcnt lgkmcnt(0)
	s_mul_i32 s11, s11, s19
	s_mul_hi_u32 s12, s10, s19
	v_mad_u64_u32 v[18:19], null, s21, v32, v[10:11]
	s_add_i32 s11, s12, s11
	s_add_u32 s8, s14, s8
	s_addc_u32 s9, s15, s9
	v_mad_u64_u32 v[19:20], null, s21, v33, v[4:5]
	s_clause 0x1
	s_load_dwordx2 s[8:9], s[8:9], 0x0
	s_load_dword s12, s[14:15], 0x10
	s_mul_i32 s10, s10, s19
	v_lshlrev_b64 v[11:12], 2, v[1:2]
	v_mul_lo_u32 v1, s22, v23
	s_lshl_b64 s[10:11], s[10:11], 2
	v_mov_b32_e32 v4, v19
	v_lshlrev_b64 v[19:20], 2, v[13:14]
	v_mov_b32_e32 v38, v17
	v_mov_b32_e32 v40, v18
	v_lshlrev_b64 v[17:18], 2, v[15:16]
	v_mad_u64_u32 v[9:10], null, s20, v35, 0
	v_lshlrev_b64 v[15:16], 2, v[37:38]
	v_lshlrev_b64 v[37:38], 2, v[1:2]
	;; [unrolled: 1-line block ×4, first 2 shown]
	v_add_nc_u16 v40, v0, 0x438
	s_waitcnt lgkmcnt(0)
	s_mul_i32 s9, s9, s19
	s_mul_hi_u32 s13, s8, s19
	s_mul_i32 s8, s8, s19
	s_add_i32 s9, s13, s9
	s_add_u32 s10, s0, s10
	s_addc_u32 s11, s1, s11
	s_lshl_b64 s[0:1], s[6:7], 2
	s_mul_i32 s6, s4, s18
	s_add_u32 s0, s10, s0
	s_addc_u32 s1, s11, s1
	v_add_co_u32 v1, vcc_lo, s0, v19
	v_add_co_ci_u32_e32 v19, vcc_lo, s1, v20, vcc_lo
	v_add_co_u32 v17, vcc_lo, s0, v17
	v_add_co_ci_u32_e32 v18, vcc_lo, s1, v18, vcc_lo
	;; [unrolled: 2-line block ×5, first 2 shown]
	v_add_co_u32 v7, vcc_lo, v17, v7
	v_sub_nc_u16 v17, v34, v36
	v_add_co_ci_u32_e32 v8, vcc_lo, v18, v8, vcc_lo
	v_mul_lo_u32 v1, s22, v25
	v_add_co_u32 v11, vcc_lo, v15, v11
	v_and_b32_e32 v56, 0xffff, v17
	v_add_nc_u16 v20, v0, 0x348
	v_add_co_ci_u32_e32 v12, vcc_lo, v16, v12, vcc_lo
	v_mad_u64_u32 v[17:18], null, s21, v35, v[10:11]
	v_mad_u64_u32 v[18:19], null, s20, v56, 0
	v_lshlrev_b64 v[15:16], 2, v[1:2]
	v_mul_u32_u24_sdwa v1, v20, v21 dst_sel:DWORD dst_unused:UNUSED_PAD src0_sel:WORD_0 src1_sel:DWORD
	v_add_co_u32 v13, vcc_lo, v13, v37
	v_add_co_ci_u32_e32 v14, vcc_lo, v14, v38, vcc_lo
	v_add_co_u32 v3, vcc_lo, s0, v3
	v_lshrrev_b32_e32 v57, 16, v1
	v_add_co_ci_u32_e32 v4, vcc_lo, s1, v4, vcc_lo
	v_mov_b32_e32 v1, v19
	v_mov_b32_e32 v10, v17
	v_add_co_u32 v3, vcc_lo, v3, v15
	v_mul_lo_u16 v17, v57, 17
	v_add_co_ci_u32_e32 v4, vcc_lo, v4, v16, vcc_lo
	v_mad_u64_u32 v[15:16], null, s21, v56, v[1:2]
	v_add_nc_u16 v34, v0, 0x3c0
	v_sub_nc_u16 v16, v20, v17
	v_lshlrev_b64 v[9:10], 2, v[9:10]
	v_mul_lo_u32 v1, s22, v26
	s_mul_i32 s4, s16, s23
	v_mul_u32_u24_sdwa v17, v34, v21 dst_sel:DWORD dst_unused:UNUSED_PAD src0_sel:WORD_0 src1_sel:DWORD
	v_mov_b32_e32 v19, v15
	v_and_b32_e32 v58, 0xffff, v16
	v_add_co_u32 v20, vcc_lo, s0, v9
	v_lshrrev_b32_e32 v59, 16, v17
	v_add_co_ci_u32_e32 v36, vcc_lo, s1, v10, vcc_lo
	v_lshlrev_b64 v[9:10], 2, v[1:2]
	v_lshlrev_b64 v[15:16], 2, v[18:19]
	v_mad_u64_u32 v[17:18], null, s20, v58, 0
	v_mul_lo_u16 v19, v59, 17
	v_mul_lo_u32 v1, s22, v28
	v_add_co_u32 v9, vcc_lo, v20, v9
	v_add_co_ci_u32_e32 v10, vcc_lo, v36, v10, vcc_lo
	v_sub_nc_u16 v20, v34, v19
	v_mul_u32_u24_sdwa v34, v40, v21 dst_sel:DWORD dst_unused:UNUSED_PAD src0_sel:WORD_0 src1_sel:DWORD
	v_add_co_u32 v38, vcc_lo, s0, v15
	v_mov_b32_e32 v15, v18
	v_add_co_ci_u32_e32 v39, vcc_lo, s1, v16, vcc_lo
	v_lshrrev_b32_e32 v61, 16, v34
	v_and_b32_e32 v60, 0xffff, v20
	v_mad_u64_u32 v[15:16], null, s21, v58, v[15:16]
	v_lshlrev_b64 v[18:19], 2, v[1:2]
	v_add_nc_u16 v34, v0, 0x4b0
	v_mul_lo_u16 v1, v61, 17
	v_mad_u64_u32 v[36:37], null, s20, v60, 0
	v_add_co_u32 v38, vcc_lo, v38, v18
	v_mov_b32_e32 v18, v15
	v_mul_u32_u24_sdwa v20, v34, v21 dst_sel:DWORD dst_unused:UNUSED_PAD src0_sel:WORD_0 src1_sel:DWORD
	v_add_co_ci_u32_e32 v39, vcc_lo, v39, v19, vcc_lo
	v_sub_nc_u16 v19, v40, v1
	v_lshlrev_b64 v[16:17], 2, v[17:18]
	v_mov_b32_e32 v15, v37
	v_lshrrev_b32_e32 v63, 16, v20
	v_mul_lo_u32 v1, s22, v57
	v_and_b32_e32 v62, 0xffff, v19
	v_mad_u64_u32 v[18:19], null, s21, v60, v[15:16]
	v_mul_lo_u16 v15, v63, 17
	v_mad_u64_u32 v[19:20], null, s20, v62, 0
	v_add_co_u32 v42, vcc_lo, s0, v16
	v_sub_nc_u16 v34, v34, v15
	v_add_co_ci_u32_e32 v43, vcc_lo, s1, v17, vcc_lo
	v_mov_b32_e32 v37, v18
	v_mov_b32_e32 v17, v20
	v_and_b32_e32 v64, 0xffff, v34
	v_add_nc_u16 v34, v0, 0x528
	v_lshlrev_b64 v[15:16], 2, v[1:2]
	v_mul_lo_u32 v1, s22, v59
	v_mad_u64_u32 v[17:18], null, s21, v62, v[17:18]
	v_mul_u32_u24_sdwa v18, v34, v21 dst_sel:DWORD dst_unused:UNUSED_PAD src0_sel:WORD_0 src1_sel:DWORD
	v_mad_u64_u32 v[40:41], null, s20, v64, 0
	v_add_co_u32 v15, vcc_lo, v42, v15
	v_lshrrev_b32_e32 v65, 16, v18
	v_add_co_ci_u32_e32 v16, vcc_lo, v43, v16, vcc_lo
	v_lshlrev_b64 v[42:43], 2, v[1:2]
	v_mov_b32_e32 v1, v41
	v_lshlrev_b64 v[36:37], 2, v[36:37]
	v_mov_b32_e32 v20, v17
	v_mul_lo_u16 v41, v65, 17
	v_mad_u64_u32 v[17:18], null, s21, v64, v[1:2]
	v_mul_lo_u32 v1, s22, v61
	v_lshlrev_b64 v[18:19], 2, v[19:20]
	v_sub_nc_u16 v20, v34, v41
	v_add_co_u32 v36, vcc_lo, s0, v36
	v_add_co_ci_u32_e32 v37, vcc_lo, s1, v37, vcc_lo
	v_and_b32_e32 v67, 0xffff, v20
	v_add_co_u32 v36, vcc_lo, v36, v42
	v_mov_b32_e32 v41, v17
	v_add_co_ci_u32_e32 v37, vcc_lo, v37, v43, vcc_lo
	v_lshlrev_b64 v[42:43], 2, v[1:2]
	v_mul_lo_u32 v1, s22, v63
	v_add_co_u32 v45, vcc_lo, s0, v18
	v_mad_u64_u32 v[17:18], null, s20, v67, 0
	v_add_co_ci_u32_e32 v46, vcc_lo, s1, v19, vcc_lo
	v_mul_lo_u16 v34, v66, 17
	v_lshlrev_b64 v[19:20], 2, v[40:41]
	v_add_co_u32 v40, vcc_lo, v45, v42
	v_add_co_ci_u32_e32 v41, vcc_lo, v46, v43, vcc_lo
	v_lshlrev_b64 v[42:43], 2, v[1:2]
	v_mul_u32_u24_sdwa v1, v47, v21 dst_sel:DWORD dst_unused:UNUSED_PAD src0_sel:WORD_0 src1_sel:DWORD
	v_sub_nc_u16 v34, v44, v34
	v_mad_u64_u32 v[44:45], null, s21, v67, v[18:19]
	v_lshrrev_b32_e32 v69, 16, v1
	v_and_b32_e32 v68, 0xffff, v34
	v_add_co_u32 v1, vcc_lo, s0, v19
	v_add_co_ci_u32_e32 v20, vcc_lo, s1, v20, vcc_lo
	v_mov_b32_e32 v18, v44
	v_mul_lo_u16 v44, v69, 17
	v_mad_u64_u32 v[45:46], null, s20, v68, 0
	v_add_co_u32 v19, vcc_lo, v1, v42
	v_sub_nc_u16 v44, v47, v44
	v_lshlrev_b64 v[17:18], 2, v[17:18]
	v_mul_lo_u32 v1, s22, v65
	v_add_co_ci_u32_e32 v20, vcc_lo, v20, v43, vcc_lo
	v_mov_b32_e32 v34, v46
	v_and_b32_e32 v70, 0xffff, v44
	v_mad_u64_u32 v[42:43], null, s21, v68, v[34:35]
	v_add_co_u32 v34, vcc_lo, s0, v17
	v_mad_u64_u32 v[43:44], null, s20, v70, 0
	v_add_co_ci_u32_e32 v47, vcc_lo, s1, v18, vcc_lo
	v_lshlrev_b64 v[17:18], 2, v[1:2]
	v_mov_b32_e32 v46, v42
	v_mul_lo_u16 v42, v71, 17
	v_mul_lo_u32 v1, s22, v66
	v_add_co_u32 v17, vcc_lo, v34, v17
	v_mov_b32_e32 v34, v44
	v_add_co_ci_u32_e32 v18, vcc_lo, v47, v18, vcc_lo
	v_lshlrev_b64 v[45:46], 2, v[45:46]
	v_mad_u64_u32 v[47:48], null, s21, v70, v[34:35]
	v_sub_nc_u16 v34, v49, v42
	v_mul_u32_u24_sdwa v42, v50, v21 dst_sel:DWORD dst_unused:UNUSED_PAD src0_sel:WORD_0 src1_sel:DWORD
	v_add_co_u32 v49, vcc_lo, s0, v45
	v_add_co_ci_u32_e32 v51, vcc_lo, s1, v46, vcc_lo
	v_lshrrev_b32_e32 v72, 16, v42
	v_and_b32_e32 v34, 0xffff, v34
	v_lshlrev_b64 v[45:46], 2, v[1:2]
	v_mul_u32_u24_sdwa v21, v52, v21 dst_sel:DWORD dst_unused:UNUSED_PAD src0_sel:WORD_0 src1_sel:DWORD
	v_mov_b32_e32 v44, v47
	v_mul_lo_u16 v1, v72, 17
	v_mad_u64_u32 v[47:48], null, s20, v34, 0
	v_add_co_u32 v45, vcc_lo, v49, v45
	v_sub_nc_u16 v49, v50, v1
	v_lshrrev_b32_e32 v73, 16, v21
	v_add_co_ci_u32_e32 v46, vcc_lo, v51, v46, vcc_lo
	v_mov_b32_e32 v21, v48
	v_lshlrev_b64 v[42:43], 2, v[43:44]
	v_and_b32_e32 v44, 0xffff, v49
	v_mul_lo_u16 v51, v73, 17
	v_mul_lo_u32 v1, s22, v69
	v_mad_u64_u32 v[48:49], null, s21, v34, v[21:22]
	v_mad_u64_u32 v[49:50], null, s20, v44, 0
	v_sub_nc_u16 v21, v52, v51
	v_add_co_u32 v55, vcc_lo, s0, v42
	v_add_co_ci_u32_e32 v74, vcc_lo, s1, v43, vcc_lo
	v_and_b32_e32 v75, 0xffff, v21
	v_lshlrev_b64 v[42:43], 2, v[1:2]
	v_mov_b32_e32 v1, v50
	v_lshlrev_b64 v[47:48], 2, v[47:48]
	v_mad_u64_u32 v[51:52], null, s20, v75, 0
	v_mad_u64_u32 v[53:54], null, s21, v44, v[1:2]
	v_mul_lo_u32 v1, s22, v71
	v_add_co_u32 v42, vcc_lo, v55, v42
	v_add_co_ci_u32_e32 v43, vcc_lo, v74, v43, vcc_lo
	v_mov_b32_e32 v21, v52
	v_mov_b32_e32 v50, v53
	v_lshlrev_b64 v[52:53], 2, v[1:2]
	v_mul_lo_u32 v1, s22, v72
	v_mad_u64_u32 v[54:55], null, s21, v75, v[21:22]
	s_clause 0x6
	global_load_dword v21, v[5:6], off
	global_load_dword v55, v[7:8], off
	;; [unrolled: 1-line block ×7, first 2 shown]
	v_add_co_u32 v5, vcc_lo, s0, v47
	v_add_co_ci_u32_e32 v6, vcc_lo, s1, v48, vcc_lo
	v_lshlrev_b64 v[3:4], 2, v[49:50]
	v_add_co_u32 v5, vcc_lo, v5, v52
	v_add_co_ci_u32_e32 v6, vcc_lo, v6, v53, vcc_lo
	v_mov_b32_e32 v52, v54
	v_add_co_u32 v9, vcc_lo, s0, v3
	v_add_co_ci_u32_e32 v10, vcc_lo, s1, v4, vcc_lo
	v_lshlrev_b64 v[3:4], 2, v[1:2]
	v_mul_lo_u32 v1, s22, v73
	global_load_dword v15, v[15:16], off
	v_lshlrev_b64 v[7:8], 2, v[51:52]
	s_clause 0x4
	global_load_dword v16, v[36:37], off
	global_load_dword v36, v[40:41], off
	;; [unrolled: 1-line block ×5, first 2 shown]
	v_add_co_u32 v3, vcc_lo, v9, v3
	v_add_co_ci_u32_e32 v4, vcc_lo, v10, v4, vcc_lo
	v_lshlrev_b64 v[9:10], 2, v[1:2]
	v_add_co_u32 v1, vcc_lo, s0, v7
	v_add_co_ci_u32_e32 v8, vcc_lo, s1, v8, vcc_lo
	v_lshlrev_b32_e32 v20, 2, v29
	v_add_co_u32 v7, vcc_lo, v1, v9
	v_add_co_ci_u32_e32 v8, vcc_lo, v8, v10, vcc_lo
	s_clause 0x3
	global_load_dword v1, v[42:43], off
	global_load_dword v5, v[5:6], off
	;; [unrolled: 1-line block ×4, first 2 shown]
	v_add_nc_u32_e32 v6, s23, v0
	v_mul_u32_u24_e32 v7, 0x48, v22
	v_mul_u32_u24_e32 v8, 0x48, v27
	;; [unrolled: 1-line block ×4, first 2 shown]
	v_mul_hi_u32 v9, 0x88888889, v6
	v_add3_u32 v7, 0, v7, v20
	v_lshlrev_b32_e32 v20, 2, v30
	v_lshlrev_b32_e32 v26, 2, v31
	v_mul_u32_u24_e32 v22, 0x48, v23
	v_lshlrev_b32_e32 v27, 2, v32
	v_mul_u32_u24_e32 v23, 0x48, v25
	v_mul_u32_u24_e32 v25, 0x48, v28
	v_lshrrev_b32_e32 v9, 6, v9
	v_lshlrev_b32_e32 v28, 2, v33
	v_add3_u32 v8, 0, v8, v20
	v_lshlrev_b32_e32 v29, 2, v35
	v_add3_u32 v10, 0, v10, v26
	v_mul_lo_u32 v9, 0x78, v9
	v_lshlrev_b32_e32 v30, 2, v56
	v_add3_u32 v20, 0, v22, v27
	v_add3_u32 v22, 0, v23, v28
	;; [unrolled: 1-line block ×3, first 2 shown]
	s_lshl_b64 s[0:1], s[4:5], 2
	s_waitcnt vmcnt(16)
	ds_write_b32 v7, v21
	s_waitcnt vmcnt(15)
	ds_write_b32 v8, v55
	;; [unrolled: 2-line block ×3, first 2 shown]
	v_sub_nc_u32_e32 v6, v6, v9
	v_mul_u32_u24_e32 v8, 0x48, v57
	v_lshlrev_b32_e32 v9, 2, v58
	v_add3_u32 v7, 0, v25, v30
	s_waitcnt vmcnt(13)
	ds_write_b32 v20, v12
	s_waitcnt vmcnt(12)
	ds_write_b32 v22, v13
	;; [unrolled: 2-line block ×4, first 2 shown]
	v_mul_u32_u24_e32 v10, 0x48, v61
	v_add3_u32 v7, 0, v8, v9
	v_mul_u32_u24_e32 v8, 0x48, v59
	v_lshlrev_b32_e32 v9, 2, v60
	v_lshlrev_b32_e32 v11, 2, v62
	v_mul_u32_u24_e32 v12, 0x48, v63
	v_lshlrev_b32_e32 v13, 2, v64
	v_mul_u32_u24_e32 v14, 0x48, v65
	v_lshlrev_b32_e32 v20, 2, v67
	s_add_u32 s2, s2, s0
	s_addc_u32 s3, s3, s1
	s_lshl_b64 s[0:1], s[6:7], 2
	s_add_u32 s2, s2, s0
	s_waitcnt vmcnt(9)
	ds_write_b32 v7, v15
	v_add3_u32 v7, 0, v8, v9
	v_add3_u32 v8, 0, v10, v11
	;; [unrolled: 1-line block ×3, first 2 shown]
	v_mul_u32_u24_e32 v11, 0x48, v66
	v_lshlrev_b32_e32 v12, 2, v68
	v_add3_u32 v10, 0, v14, v20
	s_waitcnt vmcnt(8)
	ds_write_b32 v7, v16
	s_waitcnt vmcnt(7)
	ds_write_b32 v8, v36
	;; [unrolled: 2-line block ×4, first 2 shown]
	v_mul_u32_u24_e32 v8, 0x48, v69
	v_lshlrev_b32_e32 v9, 2, v70
	v_add3_u32 v7, 0, v11, v12
	v_mul_u32_u24_e32 v10, 0x48, v71
	v_lshlrev_b32_e32 v11, 2, v34
	v_mul_u32_u24_e32 v12, 0x48, v72
	v_lshlrev_b32_e32 v13, 2, v44
	;; [unrolled: 2-line block ×3, first 2 shown]
	v_add3_u32 v8, 0, v8, v9
	v_add3_u32 v9, 0, v10, v11
	;; [unrolled: 1-line block ×3, first 2 shown]
	s_waitcnt vmcnt(4)
	ds_write_b32 v7, v18
	v_add3_u32 v7, 0, v14, v15
	s_waitcnt vmcnt(3)
	ds_write_b32 v8, v1
	s_waitcnt vmcnt(2)
	ds_write_b32 v9, v5
	;; [unrolled: 2-line block ×3, first 2 shown]
	v_mad_u32_u24 v1, 0x48, v6, 0
	s_addc_u32 s3, s3, s1
	s_lshl_b64 s[0:1], s[8:9], 2
	s_waitcnt vmcnt(0)
	ds_write_b32 v7, v4
	s_waitcnt lgkmcnt(0)
	s_barrier
	buffer_gl0_inv
	ds_read2_b32 v[3:4], v1 offset0:15 offset1:16
	ds_read2_b32 v[5:6], v1 offset0:1 offset1:2
	ds_read2_b32 v[9:10], v1 offset0:3 offset1:4
	ds_read2_b32 v[7:8], v1 offset0:5 offset1:6
	ds_read_b32 v22, v1
	s_add_u32 s0, s2, s0
	s_addc_u32 s1, s3, s1
	s_waitcnt lgkmcnt(3)
	v_sub_f16_e32 v27, v5, v4
	v_sub_f16_sdwa v25, v5, v4 dst_sel:DWORD dst_unused:UNUSED_PAD src0_sel:WORD_1 src1_sel:WORD_1
	v_add_f16_e32 v28, v4, v5
	s_waitcnt lgkmcnt(0)
	v_add_f16_e32 v11, v5, v22
	v_add_f16_sdwa v12, v5, v22 dst_sel:DWORD dst_unused:UNUSED_PAD src0_sel:WORD_1 src1_sel:WORD_1
	v_add_f16_sdwa v36, v4, v5 dst_sel:DWORD dst_unused:UNUSED_PAD src0_sel:WORD_1 src1_sel:WORD_1
	v_mul_f16_e32 v5, 0xb5c8, v27
	v_mul_f16_e32 v15, 0xb964, v27
	v_add_f16_e32 v13, v11, v6
	v_add_f16_sdwa v14, v12, v6 dst_sel:DWORD dst_unused:UNUSED_PAD src0_sel:DWORD src1_sel:WORD_1
	ds_read2_b32 v[30:31], v1 offset0:7 offset1:8
	ds_read2_b32 v[32:33], v1 offset0:9 offset1:10
	;; [unrolled: 1-line block ×4, first 2 shown]
	v_fmamk_f16 v39, v36, 0x3b76, v5
	v_fma_f16 v41, v36, 0x3b76, -v5
	v_add_f16_e32 v13, v13, v9
	v_add_f16_sdwa v14, v14, v9 dst_sel:DWORD dst_unused:UNUSED_PAD src0_sel:DWORD src1_sel:WORD_1
	v_fmamk_f16 v43, v36, 0x39e9, v15
	v_fma_f16 v46, v36, 0x39e9, -v15
	v_mul_f16_e32 v37, 0xb5c8, v25
	v_add_f16_e32 v13, v13, v10
	v_add_f16_sdwa v14, v14, v10 dst_sel:DWORD dst_unused:UNUSED_PAD src0_sel:DWORD src1_sel:WORD_1
	v_mul_f16_e32 v40, 0xb964, v25
	v_mul_f16_e32 v44, 0xbb29, v25
	;; [unrolled: 1-line block ×3, first 2 shown]
	v_add_f16_e32 v5, v13, v7
	v_add_f16_sdwa v13, v14, v7 dst_sel:DWORD dst_unused:UNUSED_PAD src0_sel:DWORD src1_sel:WORD_1
	v_mul_f16_e32 v54, 0xba62, v25
	v_mul_f16_e32 v55, 0xb836, v25
	v_fma_f16 v38, v28, 0x3b76, -v37
	v_add_f16_e32 v5, v5, v8
	v_add_f16_sdwa v13, v13, v8 dst_sel:DWORD dst_unused:UNUSED_PAD src0_sel:DWORD src1_sel:WORD_1
	s_waitcnt lgkmcnt(0)
	v_add_f16_e32 v48, v35, v9
	v_add_f16_sdwa v49, v35, v9 dst_sel:DWORD dst_unused:UNUSED_PAD src0_sel:WORD_1 src1_sel:WORD_1
	v_sub_f16_e32 v50, v9, v35
	v_add_f16_e32 v5, v5, v30
	v_add_f16_sdwa v13, v13, v30 dst_sel:DWORD dst_unused:UNUSED_PAD src0_sel:DWORD src1_sel:WORD_1
	v_sub_f16_sdwa v51, v9, v35 dst_sel:DWORD dst_unused:UNUSED_PAD src0_sel:WORD_1 src1_sel:WORD_1
	v_add_f16_e32 v19, v12, v7
	v_add_f16_sdwa v18, v12, v7 dst_sel:DWORD dst_unused:UNUSED_PAD src0_sel:WORD_1 src1_sel:WORD_1
	v_add_f16_e32 v5, v5, v31
	v_add_f16_sdwa v13, v13, v31 dst_sel:DWORD dst_unused:UNUSED_PAD src0_sel:DWORD src1_sel:WORD_1
	v_sub_f16_e32 v21, v7, v12
	v_sub_f16_sdwa v20, v7, v12 dst_sel:DWORD dst_unused:UNUSED_PAD src0_sel:WORD_1 src1_sel:WORD_1
	v_add_f16_e32 v16, v11, v8
	v_add_f16_e32 v5, v5, v32
	v_add_f16_sdwa v9, v13, v32 dst_sel:DWORD dst_unused:UNUSED_PAD src0_sel:DWORD src1_sel:WORD_1
	v_add_f16_sdwa v14, v11, v8 dst_sel:DWORD dst_unused:UNUSED_PAD src0_sel:WORD_1 src1_sel:WORD_1
	v_sub_f16_e32 v17, v8, v11
	v_sub_f16_sdwa v15, v8, v11 dst_sel:DWORD dst_unused:UNUSED_PAD src0_sel:WORD_1 src1_sel:WORD_1
	v_add_f16_e32 v5, v5, v33
	v_add_f16_sdwa v9, v9, v33 dst_sel:DWORD dst_unused:UNUSED_PAD src0_sel:DWORD src1_sel:WORD_1
	v_add_f16_e32 v23, v34, v10
	v_add_f16_sdwa v24, v34, v10 dst_sel:DWORD dst_unused:UNUSED_PAD src0_sel:WORD_1 src1_sel:WORD_1
	v_sub_f16_e32 v29, v10, v34
	v_add_f16_e32 v5, v5, v11
	v_add_f16_sdwa v7, v9, v11 dst_sel:DWORD dst_unused:UNUSED_PAD src0_sel:DWORD src1_sel:WORD_1
	v_sub_f16_sdwa v26, v10, v34 dst_sel:DWORD dst_unused:UNUSED_PAD src0_sel:WORD_1 src1_sel:WORD_1
	v_add_f16_sdwa v10, v33, v30 dst_sel:DWORD dst_unused:UNUSED_PAD src0_sel:WORD_1 src1_sel:WORD_1
	v_sub_f16_e32 v13, v30, v33
	v_add_f16_e32 v5, v5, v12
	v_add_f16_sdwa v7, v7, v12 dst_sel:DWORD dst_unused:UNUSED_PAD src0_sel:DWORD src1_sel:WORD_1
	v_add_f16_e32 v12, v33, v30
	v_sub_f16_sdwa v11, v30, v33 dst_sel:DWORD dst_unused:UNUSED_PAD src0_sel:WORD_1 src1_sel:WORD_1
	v_sub_f16_e32 v9, v31, v32
	v_add_f16_e32 v5, v5, v34
	v_add_f16_sdwa v8, v7, v34 dst_sel:DWORD dst_unused:UNUSED_PAD src0_sel:DWORD src1_sel:WORD_1
	v_add_f16_e32 v7, v32, v31
	v_sub_f16_e32 v34, v6, v3
	v_fmac_f16_e32 v37, 0x3b76, v28
	v_add_f16_e32 v30, v5, v35
	v_add_f16_sdwa v33, v8, v35 dst_sel:DWORD dst_unused:UNUSED_PAD src0_sel:DWORD src1_sel:WORD_1
	v_add_f16_sdwa v5, v32, v31 dst_sel:DWORD dst_unused:UNUSED_PAD src0_sel:WORD_1 src1_sel:WORD_1
	v_sub_f16_sdwa v8, v31, v32 dst_sel:DWORD dst_unused:UNUSED_PAD src0_sel:WORD_1 src1_sel:WORD_1
	v_add_f16_e32 v31, v3, v6
	v_add_f16_e32 v30, v30, v3
	v_add_f16_sdwa v33, v33, v3 dst_sel:DWORD dst_unused:UNUSED_PAD src0_sel:DWORD src1_sel:WORD_1
	v_add_f16_sdwa v32, v3, v6 dst_sel:DWORD dst_unused:UNUSED_PAD src0_sel:WORD_1 src1_sel:WORD_1
	v_sub_f16_sdwa v6, v6, v3 dst_sel:DWORD dst_unused:UNUSED_PAD src0_sel:WORD_1 src1_sel:WORD_1
	v_fma_f16 v42, v28, 0x39e9, -v40
	v_add_f16_e32 v3, v30, v4
	v_add_f16_sdwa v4, v33, v4 dst_sel:WORD_1 dst_unused:UNUSED_PAD src0_sel:DWORD src1_sel:WORD_1
	v_mul_f16_e32 v30, 0xbbf7, v25
	v_fmac_f16_e32 v40, 0x39e9, v28
	v_mul_f16_e32 v45, 0xbb29, v27
	v_fma_f16 v47, v28, 0x3722, -v44
	v_fmac_f16_e32 v44, 0x3722, v28
	v_mul_f16_e32 v33, 0xbbf7, v27
	v_or_b32_sdwa v3, v4, v3 dst_sel:DWORD dst_unused:UNUSED_PAD src0_sel:DWORD src1_sel:WORD_0
	v_fma_f16 v4, v28, 0x2de8, -v30
	v_fmac_f16_e32 v30, 0x2de8, v28
	v_fma_f16 v56, v28, 0xb461, -v52
	v_fmac_f16_e32 v52, 0xb461, v28
	;; [unrolled: 2-line block ×3, first 2 shown]
	v_fma_f16 v58, v28, 0xbacd, -v55
	v_mul_f16_e32 v59, 0xbbb2, v27
	v_fmac_f16_e32 v55, 0xbacd, v28
	v_pack_b32_f16 v28, v27, v28
	v_mul_f16_e32 v60, 0xba62, v27
	v_mul_f16_e32 v27, 0xb836, v27
	v_fmamk_f16 v53, v36, 0x2de8, v33
	v_fmamk_f16 v61, v36, 0xb461, v59
	v_pack_b32_f16 v25, v36, v25
	v_pk_mul_f16 v28, 0xbbddb1e1, v28
	v_fmamk_f16 v62, v36, 0xb8d2, v60
	v_fmamk_f16 v63, v36, 0xbacd, v27
	;; [unrolled: 1-line block ×3, first 2 shown]
	v_fma_f16 v45, v36, 0x3722, -v45
	v_fma_f16 v33, v36, 0x2de8, -v33
	;; [unrolled: 1-line block ×5, first 2 shown]
	v_pk_fma_f16 v36, 0xb1e1bbdd, v25, v28 neg_lo:[0,1,0] neg_hi:[0,1,0]
	v_pk_fma_f16 v64, 0xb1e1bbdd, v25, v28
	v_pk_fma_f16 v25, 0xb1e1bbdd, v25, v28 neg_lo:[0,0,1] neg_hi:[0,0,1]
	v_add_f16_e32 v28, v38, v22
	v_add_f16_sdwa v38, v39, v22 dst_sel:DWORD dst_unused:UNUSED_PAD src0_sel:DWORD src1_sel:WORD_1
	v_add_f16_sdwa v39, v41, v22 dst_sel:DWORD dst_unused:UNUSED_PAD src0_sel:DWORD src1_sel:WORD_1
	v_add_f16_e32 v41, v42, v22
	v_add_f16_sdwa v42, v43, v22 dst_sel:DWORD dst_unused:UNUSED_PAD src0_sel:DWORD src1_sel:WORD_1
	v_add_f16_sdwa v43, v46, v22 dst_sel:DWORD dst_unused:UNUSED_PAD src0_sel:DWORD src1_sel:WORD_1
	v_add_f16_e32 v46, v47, v22
	v_add_f16_sdwa v47, v53, v22 dst_sel:DWORD dst_unused:UNUSED_PAD src0_sel:DWORD src1_sel:WORD_1
	v_add_f16_e32 v53, v56, v22
	v_add_f16_sdwa v56, v61, v22 dst_sel:DWORD dst_unused:UNUSED_PAD src0_sel:DWORD src1_sel:WORD_1
	v_add_f16_sdwa v61, v62, v22 dst_sel:DWORD dst_unused:UNUSED_PAD src0_sel:DWORD src1_sel:WORD_1
	;; [unrolled: 1-line block ×3, first 2 shown]
	v_mul_f16_e32 v63, 0xb964, v6
	v_mul_f16_e32 v65, 0xb964, v34
	v_add_f16_e32 v37, v37, v22
	v_add_f16_e32 v40, v40, v22
	v_add_f16_sdwa v35, v35, v22 dst_sel:DWORD dst_unused:UNUSED_PAD src0_sel:DWORD src1_sel:WORD_1
	v_add_f16_e32 v44, v44, v22
	v_add_f16_sdwa v45, v45, v22 dst_sel:DWORD dst_unused:UNUSED_PAD src0_sel:DWORD src1_sel:WORD_1
	v_add_f16_e32 v4, v4, v22
	v_add_f16_e32 v30, v30, v22
	v_add_f16_sdwa v33, v33, v22 dst_sel:DWORD dst_unused:UNUSED_PAD src0_sel:DWORD src1_sel:WORD_1
	v_add_f16_e32 v52, v52, v22
	v_add_f16_sdwa v59, v59, v22 dst_sel:DWORD dst_unused:UNUSED_PAD src0_sel:DWORD src1_sel:WORD_1
	v_add_f16_e32 v57, v57, v22
	v_add_f16_e32 v54, v54, v22
	v_add_f16_sdwa v60, v60, v22 dst_sel:DWORD dst_unused:UNUSED_PAD src0_sel:DWORD src1_sel:WORD_1
	v_add_f16_e32 v58, v58, v22
	v_add_f16_e32 v55, v55, v22
	v_add_f16_sdwa v27, v27, v22 dst_sel:DWORD dst_unused:UNUSED_PAD src0_sel:DWORD src1_sel:WORD_1
	v_pk_add_f16 v36, v36, v22 op_sel:[0,1] op_sel_hi:[1,0]
	v_fma_f16 v66, v31, 0x39e9, -v63
	v_pk_add_f16 v64, v64, v22 op_sel:[0,1] op_sel_hi:[1,0]
	v_pk_add_f16 v22, v25, v22 op_sel:[0,1] op_sel_hi:[1,0]
	v_mul_f16_e32 v25, 0xbbf7, v6
	v_fmamk_f16 v67, v32, 0x39e9, v65
	v_add_f16_e32 v28, v66, v28
	v_fma_f16 v65, v32, 0x39e9, -v65
	v_fmac_f16_e32 v63, 0x39e9, v31
	v_fma_f16 v66, v31, 0x2de8, -v25
	v_add_f16_e32 v38, v67, v38
	v_mul_f16_e32 v67, 0xbbf7, v34
	v_add_f16_e32 v39, v65, v39
	v_fmac_f16_e32 v25, 0x2de8, v31
	v_add_f16_e32 v41, v66, v41
	v_add_f16_e32 v37, v63, v37
	v_fmamk_f16 v65, v32, 0x2de8, v67
	v_fma_f16 v66, v32, 0x2de8, -v67
	v_mul_f16_e32 v67, 0xba62, v34
	v_mul_f16_e32 v63, 0xba62, v6
	v_add_f16_e32 v25, v25, v40
	v_add_f16_e32 v42, v65, v42
	;; [unrolled: 1-line block ×3, first 2 shown]
	v_fmamk_f16 v43, v32, 0xb8d2, v67
	v_fma_f16 v68, v31, 0xb8d2, -v63
	v_mul_f16_e32 v65, 0xb1e1, v6
	v_fmac_f16_e32 v63, 0xb8d2, v31
	v_fma_f16 v66, v32, 0xb8d2, -v67
	v_add_f16_e32 v35, v43, v35
	v_mul_f16_e32 v43, 0xb1e1, v34
	v_fma_f16 v67, v31, 0xbbdd, -v65
	v_add_f16_e32 v44, v63, v44
	v_add_f16_e32 v45, v66, v45
	v_mul_f16_e32 v63, 0x3836, v6
	v_fmamk_f16 v66, v32, 0xbbdd, v43
	v_add_f16_e32 v4, v67, v4
	v_fmac_f16_e32 v65, 0xbbdd, v31
	v_fma_f16 v43, v32, 0xbbdd, -v43
	v_fma_f16 v67, v31, 0xbacd, -v63
	v_add_f16_e32 v47, v66, v47
	v_mul_f16_e32 v66, 0x3836, v34
	v_add_f16_e32 v30, v65, v30
	v_add_f16_e32 v33, v43, v33
	;; [unrolled: 1-line block ×3, first 2 shown]
	v_mul_f16_e32 v53, 0x3bb2, v6
	v_fmamk_f16 v65, v32, 0xbacd, v66
	v_mul_f16_e32 v67, 0x3bb2, v34
	v_fmac_f16_e32 v63, 0xbacd, v31
	v_fma_f16 v66, v32, 0xbacd, -v66
	v_add_f16_e32 v46, v68, v46
	v_fma_f16 v68, v31, 0xb461, -v53
	v_add_f16_e32 v56, v65, v56
	v_fmamk_f16 v65, v32, 0xb461, v67
	v_add_f16_e32 v52, v63, v52
	v_add_f16_e32 v59, v66, v59
	v_fmac_f16_e32 v53, 0xb461, v31
	v_mul_f16_e32 v63, 0x3b29, v6
	v_mul_f16_e32 v66, 0x3b29, v34
	v_pack_b32_f16 v34, v34, v31
	v_add_f16_e32 v61, v65, v61
	v_fma_f16 v65, v32, 0xb461, -v67
	v_add_f16_e32 v53, v53, v54
	v_fma_f16 v54, v31, 0x3722, -v63
	v_pack_b32_f16 v6, v32, v6
	v_pk_mul_f16 v34, 0x3b7635c8, v34
	v_add_f16_e32 v60, v65, v60
	v_fmamk_f16 v65, v32, 0x3722, v66
	v_add_f16_e32 v54, v54, v58
	v_fma_f16 v32, v32, 0x3722, -v66
	v_pk_fma_f16 v58, 0x35c83b76, v6, v34 neg_lo:[0,1,0] neg_hi:[0,1,0]
	v_fmac_f16_e32 v63, 0x3722, v31
	v_add_f16_e32 v31, v65, v62
	v_pk_fma_f16 v62, 0x35c83b76, v6, v34
	v_pk_fma_f16 v6, 0x35c83b76, v6, v34 neg_lo:[0,0,1] neg_hi:[0,0,1]
	v_mul_f16_e32 v34, 0xbb29, v51
	v_add_f16_e32 v27, v32, v27
	v_pk_add_f16 v32, v58, v36
	v_mul_f16_e32 v36, 0xbb29, v50
	v_add_f16_e32 v55, v63, v55
	v_fma_f16 v58, v48, 0x3722, -v34
	v_pk_add_f16 v6, v6, v22
	v_mul_f16_e32 v22, 0xba62, v51
	v_fmamk_f16 v63, v49, 0x3722, v36
	v_fmac_f16_e32 v34, 0x3722, v48
	v_add_f16_e32 v28, v58, v28
	v_fma_f16 v36, v49, 0x3722, -v36
	v_fma_f16 v58, v48, 0xb8d2, -v22
	v_add_f16_e32 v38, v63, v38
	v_mul_f16_e32 v63, 0xba62, v50
	v_add_f16_e32 v34, v34, v37
	v_add_f16_e32 v36, v36, v39
	;; [unrolled: 1-line block ×3, first 2 shown]
	v_mul_f16_e32 v39, 0x31e1, v51
	v_fmamk_f16 v41, v49, 0xb8d2, v63
	v_fmac_f16_e32 v22, 0xb8d2, v48
	v_fma_f16 v58, v49, 0xb8d2, -v63
	v_mul_f16_e32 v63, 0x31e1, v50
	v_pk_add_f16 v62, v62, v64
	v_fma_f16 v64, v48, 0xbbdd, -v39
	v_add_f16_e32 v22, v22, v25
	v_add_f16_e32 v25, v58, v40
	v_fmamk_f16 v40, v49, 0xbbdd, v63
	v_add_f16_e32 v41, v41, v42
	v_add_f16_e32 v42, v64, v46
	v_mul_f16_e32 v46, 0x3bb2, v51
	v_fmac_f16_e32 v39, 0xbbdd, v48
	v_fma_f16 v58, v49, 0xbbdd, -v63
	v_add_f16_e32 v35, v40, v35
	v_mul_f16_e32 v40, 0x3bb2, v50
	v_fma_f16 v63, v48, 0xb461, -v46
	v_add_f16_e32 v39, v39, v44
	v_add_f16_e32 v44, v58, v45
	v_mul_f16_e32 v45, 0x3964, v51
	v_fmamk_f16 v58, v49, 0xb461, v40
	v_add_f16_e32 v4, v63, v4
	v_fmac_f16_e32 v46, 0xb461, v48
	v_fma_f16 v40, v49, 0xb461, -v40
	v_fma_f16 v63, v48, 0x39e9, -v45
	v_add_f16_e32 v47, v58, v47
	v_mul_f16_e32 v58, 0x3964, v50
	v_add_f16_e32 v30, v46, v30
	v_add_f16_e32 v33, v40, v33
	;; [unrolled: 1-line block ×3, first 2 shown]
	v_mul_f16_e32 v63, 0xb5c8, v50
	v_fmamk_f16 v46, v49, 0x39e9, v58
	v_mul_f16_e32 v43, 0xb5c8, v51
	v_fmac_f16_e32 v45, 0x39e9, v48
	v_fma_f16 v58, v49, 0x39e9, -v58
	v_add_f16_e32 v57, v68, v57
	v_add_f16_e32 v46, v46, v56
	v_fmamk_f16 v56, v49, 0x3b76, v63
	v_fma_f16 v64, v48, 0x3b76, -v43
	v_add_f16_e32 v45, v45, v52
	v_add_f16_e32 v52, v58, v59
	v_fmac_f16_e32 v43, 0x3b76, v48
	v_add_f16_e32 v56, v56, v61
	v_mul_f16_e32 v58, 0xbbf7, v51
	v_mul_f16_e32 v61, 0xbbf7, v50
	v_pack_b32_f16 v50, v50, v48
	v_fma_f16 v59, v49, 0x3b76, -v63
	v_add_f16_e32 v43, v43, v53
	v_fma_f16 v53, v48, 0x2de8, -v58
	v_pack_b32_f16 v51, v49, v51
	v_pk_mul_f16 v50, 0xbacdb836, v50
	v_fmac_f16_e32 v58, 0x2de8, v48
	v_fma_f16 v48, v49, 0x2de8, -v61
	v_add_f16_e32 v59, v59, v60
	v_fmamk_f16 v60, v49, 0x2de8, v61
	v_add_f16_e32 v53, v53, v54
	v_pk_fma_f16 v49, 0xb836bacd, v51, v50 neg_lo:[0,1,0] neg_hi:[0,1,0]
	v_pk_fma_f16 v54, 0xb836bacd, v51, v50
	v_pk_fma_f16 v50, 0xb836bacd, v51, v50 neg_lo:[0,0,1] neg_hi:[0,0,1]
	v_mul_f16_e32 v51, 0xbbf7, v26
	v_add_f16_e32 v27, v48, v27
	v_mul_f16_e32 v48, 0xbbf7, v29
	v_add_f16_e32 v55, v58, v55
	v_pk_add_f16 v32, v49, v32
	v_fma_f16 v49, v23, 0x2de8, -v51
	v_pk_add_f16 v6, v50, v6
	v_mul_f16_e32 v50, 0xb1e1, v26
	v_fmamk_f16 v58, v24, 0x2de8, v48
	v_fmac_f16_e32 v51, 0x2de8, v23
	v_add_f16_e32 v28, v49, v28
	v_fma_f16 v48, v24, 0x2de8, -v48
	v_fma_f16 v49, v23, 0xbbdd, -v50
	v_add_f16_e32 v38, v58, v38
	v_mul_f16_e32 v58, 0xb1e1, v29
	v_add_f16_e32 v34, v51, v34
	v_add_f16_e32 v36, v48, v36
	;; [unrolled: 1-line block ×3, first 2 shown]
	v_mul_f16_e32 v48, 0x3bb2, v26
	v_fmamk_f16 v49, v24, 0xbbdd, v58
	v_fma_f16 v51, v24, 0xbbdd, -v58
	v_mul_f16_e32 v58, 0x3bb2, v29
	v_fmac_f16_e32 v50, 0xbbdd, v23
	v_add_f16_e32 v31, v60, v31
	v_add_f16_e32 v41, v49, v41
	v_fma_f16 v60, v23, 0xb461, -v48
	v_fmamk_f16 v49, v24, 0xb461, v58
	v_add_f16_e32 v22, v50, v22
	v_add_f16_e32 v25, v51, v25
	v_mul_f16_e32 v50, 0x35c8, v26
	v_fmac_f16_e32 v48, 0xb461, v23
	v_fma_f16 v51, v24, 0xb461, -v58
	v_add_f16_e32 v35, v49, v35
	v_mul_f16_e32 v49, 0x35c8, v29
	v_fma_f16 v58, v23, 0x3b76, -v50
	v_add_f16_e32 v39, v48, v39
	v_add_f16_e32 v44, v51, v44
	v_mul_f16_e32 v48, 0xbb29, v26
	v_fmamk_f16 v51, v24, 0x3b76, v49
	v_add_f16_e32 v4, v58, v4
	v_fmac_f16_e32 v50, 0x3b76, v23
	v_fma_f16 v49, v24, 0x3b76, -v49
	v_fma_f16 v58, v23, 0x3722, -v48
	v_add_f16_e32 v47, v51, v47
	v_mul_f16_e32 v51, 0xbb29, v29
	v_add_f16_e32 v30, v50, v30
	v_add_f16_e32 v33, v49, v33
	v_add_f16_e32 v40, v58, v40
	v_mul_f16_e32 v49, 0xb836, v26
	v_fmamk_f16 v50, v24, 0x3722, v51
	v_mul_f16_e32 v58, 0xb836, v29
	v_add_f16_e32 v57, v64, v57
	v_add_f16_e32 v42, v60, v42
	v_fmac_f16_e32 v48, 0x3722, v23
	v_fma_f16 v51, v24, 0x3722, -v51
	v_fma_f16 v60, v23, 0xbacd, -v49
	v_add_f16_e32 v46, v50, v46
	v_fmamk_f16 v50, v24, 0xbacd, v58
	v_add_f16_e32 v45, v48, v45
	v_add_f16_e32 v48, v51, v52
	;; [unrolled: 1-line block ×3, first 2 shown]
	v_fmac_f16_e32 v49, 0xbacd, v23
	v_add_f16_e32 v50, v50, v56
	v_fma_f16 v52, v24, 0xbacd, -v58
	v_mul_f16_e32 v56, 0x3a62, v26
	v_mul_f16_e32 v57, 0x3a62, v29
	v_pack_b32_f16 v29, v29, v23
	v_add_f16_e32 v43, v49, v43
	v_add_f16_e32 v49, v52, v59
	v_fma_f16 v52, v23, 0xb8d2, -v56
	v_pack_b32_f16 v26, v24, v26
	v_pk_mul_f16 v29, 0x39e93964, v29
	v_fmamk_f16 v58, v24, 0xb8d2, v57
	v_fmac_f16_e32 v56, 0xb8d2, v23
	v_fma_f16 v23, v24, 0xb8d2, -v57
	v_add_f16_e32 v24, v52, v53
	v_pk_fma_f16 v52, 0x396439e9, v26, v29 neg_lo:[0,1,0] neg_hi:[0,1,0]
	v_mul_f16_e32 v57, 0xbbb2, v20
	v_pk_fma_f16 v53, 0x396439e9, v26, v29
	v_pk_fma_f16 v26, 0x396439e9, v26, v29 neg_lo:[0,0,1] neg_hi:[0,0,1]
	v_add_f16_e32 v23, v23, v27
	v_pk_add_f16 v27, v52, v32
	v_fma_f16 v32, v19, 0xb461, -v57
	v_mul_f16_e32 v52, 0xbbb2, v21
	v_pk_add_f16 v54, v54, v62
	v_add_f16_e32 v29, v56, v55
	v_pk_add_f16 v6, v26, v6
	v_mul_f16_e32 v26, 0x3836, v20
	v_add_f16_e32 v28, v32, v28
	v_fmamk_f16 v32, v18, 0xb461, v52
	v_fma_f16 v52, v18, 0xb461, -v52
	v_mul_f16_e32 v55, 0x3836, v21
	v_pk_add_f16 v53, v53, v54
	v_fma_f16 v54, v19, 0xbacd, -v26
	v_add_f16_e32 v32, v32, v38
	v_add_f16_e32 v36, v52, v36
	v_fmamk_f16 v38, v18, 0xbacd, v55
	v_mul_f16_e32 v52, 0x3964, v20
	v_add_f16_e32 v37, v54, v37
	v_fmac_f16_e32 v26, 0xbacd, v19
	v_fma_f16 v54, v18, 0xbacd, -v55
	v_mul_f16_e32 v55, 0x3964, v21
	v_add_f16_e32 v38, v38, v41
	v_fma_f16 v41, v19, 0x39e9, -v52
	v_add_f16_e32 v22, v26, v22
	v_add_f16_e32 v25, v54, v25
	v_fmamk_f16 v26, v18, 0x39e9, v55
	v_mul_f16_e32 v54, 0xbb29, v20
	v_add_f16_e32 v41, v41, v42
	v_fma_f16 v42, v18, 0x39e9, -v55
	v_fmac_f16_e32 v52, 0x39e9, v19
	v_add_f16_e32 v26, v26, v35
	v_fma_f16 v35, v19, 0x3722, -v54
	v_mul_f16_e32 v55, 0xbb29, v21
	v_add_f16_e32 v42, v42, v44
	v_mul_f16_e32 v44, 0xb1e1, v20
	v_add_f16_e32 v39, v52, v39
	v_add_f16_e32 v4, v35, v4
	v_fmamk_f16 v35, v18, 0x3722, v55
	v_fmac_f16_e32 v54, 0x3722, v19
	v_fma_f16 v52, v18, 0x3722, -v55
	v_fma_f16 v55, v19, 0xbbdd, -v44
	v_mul_f16_e32 v56, 0xb1e1, v21
	v_add_f16_e32 v35, v35, v47
	v_add_f16_e32 v30, v54, v30
	;; [unrolled: 1-line block ×4, first 2 shown]
	v_fmamk_f16 v47, v18, 0xbbdd, v56
	v_mul_f16_e32 v52, 0x3bf7, v20
	v_fmac_f16_e32 v44, 0xbbdd, v19
	v_fma_f16 v54, v18, 0xbbdd, -v56
	v_mul_f16_e32 v55, 0x3bf7, v21
	v_add_f16_e32 v46, v47, v46
	v_fma_f16 v47, v19, 0x2de8, -v52
	v_add_f16_e32 v44, v44, v45
	v_add_f16_e32 v45, v54, v48
	v_fmamk_f16 v48, v18, 0x2de8, v55
	v_mul_f16_e32 v54, 0xb5c8, v20
	v_add_f16_e32 v47, v47, v51
	v_fma_f16 v51, v18, 0x2de8, -v55
	v_add_f16_e32 v31, v58, v31
	v_add_f16_e32 v48, v48, v50
	v_mul_f16_e32 v50, 0xb5c8, v21
	v_pack_b32_f16 v21, v21, v19
	v_fmac_f16_e32 v57, 0xb461, v19
	v_fmac_f16_e32 v52, 0x2de8, v19
	v_add_f16_e32 v49, v51, v49
	v_fma_f16 v51, v19, 0x3b76, -v54
	v_fmac_f16_e32 v54, 0x3b76, v19
	v_fmamk_f16 v19, v18, 0x3b76, v50
	v_fma_f16 v50, v18, 0x3b76, -v50
	v_pack_b32_f16 v18, v18, v20
	v_pk_mul_f16 v20, 0xb8d2ba62, v21
	v_add_f16_e32 v21, v51, v24
	v_add_f16_e32 v19, v19, v31
	v_mul_f16_e32 v31, 0xba62, v15
	v_add_f16_e32 v23, v50, v23
	v_pk_fma_f16 v24, 0xba62b8d2, v18, v20 neg_lo:[0,1,0] neg_hi:[0,1,0]
	v_mul_f16_e32 v50, 0xba62, v17
	v_add_f16_e32 v34, v57, v34
	v_add_f16_e32 v43, v52, v43
	;; [unrolled: 1-line block ×3, first 2 shown]
	v_pk_add_f16 v24, v24, v27
	v_pk_fma_f16 v27, 0xba62b8d2, v18, v20
	v_pk_fma_f16 v18, 0xba62b8d2, v18, v20 neg_lo:[0,0,1] neg_hi:[0,0,1]
	v_fma_f16 v20, v16, 0xb8d2, -v31
	v_fmamk_f16 v51, v14, 0xb8d2, v50
	v_fmac_f16_e32 v31, 0xb8d2, v16
	v_fma_f16 v50, v14, 0xb8d2, -v50
	v_pk_add_f16 v6, v18, v6
	v_mul_f16_e32 v18, 0x3bb2, v15
	v_add_f16_e32 v20, v20, v28
	v_mul_f16_e32 v28, 0x3bb2, v17
	v_add_f16_e32 v32, v51, v32
	v_add_f16_e32 v31, v31, v34
	v_fma_f16 v51, v16, 0xb461, -v18
	v_add_f16_e32 v36, v50, v36
	v_fmamk_f16 v34, v14, 0xb461, v28
	v_mul_f16_e32 v50, 0xb5c8, v15
	v_fmac_f16_e32 v18, 0xb461, v16
	v_add_f16_e32 v37, v51, v37
	v_mul_f16_e32 v51, 0xb5c8, v17
	v_fma_f16 v28, v14, 0xb461, -v28
	v_add_f16_e32 v34, v34, v38
	v_fma_f16 v38, v16, 0x3b76, -v50
	v_add_f16_e32 v18, v18, v22
	v_fmamk_f16 v22, v14, 0x3b76, v51
	v_fmac_f16_e32 v50, 0x3b76, v16
	v_add_f16_e32 v25, v28, v25
	v_mul_f16_e32 v28, 0xb836, v15
	v_add_f16_e32 v38, v38, v41
	v_mul_f16_e32 v41, 0xb836, v17
	v_fma_f16 v51, v14, 0x3b76, -v51
	v_add_f16_e32 v22, v22, v26
	v_fma_f16 v26, v16, 0xbacd, -v28
	v_add_f16_e32 v39, v50, v39
	v_fmamk_f16 v50, v14, 0xbacd, v41
	v_add_f16_e32 v42, v51, v42
	v_mul_f16_e32 v51, 0x3bf7, v15
	v_fmac_f16_e32 v28, 0xbacd, v16
	v_add_f16_e32 v4, v26, v4
	v_mul_f16_e32 v26, 0x3bf7, v17
	v_fma_f16 v41, v14, 0xbacd, -v41
	v_add_f16_e32 v35, v50, v35
	v_fma_f16 v50, v16, 0x2de8, -v51
	v_add_f16_e32 v28, v28, v30
	v_fmamk_f16 v30, v14, 0x2de8, v26
	v_fmac_f16_e32 v51, 0x2de8, v16
	v_add_f16_e32 v33, v41, v33
	v_mul_f16_e32 v41, 0xb964, v15
	v_add_f16_e32 v40, v50, v40
	v_mul_f16_e32 v50, 0xb964, v17
	v_fma_f16 v26, v14, 0x2de8, -v26
	v_add_f16_e32 v30, v30, v46
	v_fma_f16 v46, v16, 0x39e9, -v41
	v_add_f16_e32 v44, v51, v44
	v_fmamk_f16 v51, v14, 0x39e9, v50
	v_add_f16_e32 v26, v26, v45
	v_mul_f16_e32 v45, 0xb1e1, v15
	v_fmac_f16_e32 v41, 0x39e9, v16
	v_add_f16_e32 v46, v46, v47
	v_mul_f16_e32 v47, 0xb1e1, v17
	v_add_f16_e32 v48, v51, v48
	v_fma_f16 v51, v16, 0xbbdd, -v45
	v_fmac_f16_e32 v45, 0xbbdd, v16
	v_pack_b32_f16 v16, v17, v16
	v_fma_f16 v50, v14, 0x39e9, -v50
	v_add_f16_e32 v41, v41, v43
	v_fmamk_f16 v43, v14, 0xbbdd, v47
	v_fma_f16 v47, v14, 0xbbdd, -v47
	v_pack_b32_f16 v14, v14, v15
	v_pk_mul_f16 v15, 0x37223b29, v16
	v_mul_f16_e32 v17, 0xb836, v11
	v_add_f16_e32 v19, v43, v19
	v_add_f16_e32 v49, v50, v49
	v_mul_f16_e32 v50, 0xb836, v13
	v_pk_fma_f16 v43, 0x3b293722, v14, v15 neg_lo:[0,1,0] neg_hi:[0,1,0]
	v_add_f16_e32 v29, v45, v29
	v_mul_f16_e32 v45, 0x3b29, v11
	v_pk_add_f16 v27, v27, v53
	v_fma_f16 v16, v12, 0xbacd, -v17
	v_pk_add_f16 v24, v43, v24
	v_pk_fma_f16 v43, 0x3b293722, v14, v15
	v_pk_fma_f16 v14, 0x3b293722, v14, v15 neg_lo:[0,0,1] neg_hi:[0,0,1]
	v_add_f16_e32 v21, v51, v21
	v_fmamk_f16 v51, v10, 0xbacd, v50
	v_add_f16_e32 v23, v47, v23
	v_mul_f16_e32 v47, 0x3b29, v13
	v_fma_f16 v15, v12, 0x3722, -v45
	v_pk_add_f16 v6, v14, v6
	v_mul_f16_e32 v14, 0xbbf7, v11
	v_fmac_f16_e32 v17, 0xbacd, v12
	v_fma_f16 v50, v10, 0xbacd, -v50
	v_pk_add_f16 v27, v43, v27
	v_fmamk_f16 v43, v10, 0x3722, v47
	v_fmac_f16_e32 v45, 0x3722, v12
	v_add_f16_e32 v16, v16, v20
	v_mul_f16_e32 v20, 0xbbf7, v13
	v_fma_f16 v47, v10, 0x3722, -v47
	v_add_f16_e32 v32, v51, v32
	v_fma_f16 v51, v12, 0x2de8, -v14
	v_add_f16_e32 v15, v15, v37
	v_mul_f16_e32 v37, 0x3a62, v13
	v_add_f16_e32 v17, v17, v31
	v_fmamk_f16 v31, v10, 0x2de8, v20
	v_fmac_f16_e32 v14, 0x2de8, v12
	v_add_f16_e32 v36, v50, v36
	v_mul_f16_e32 v50, 0x3a62, v11
	v_fma_f16 v20, v10, 0x2de8, -v20
	v_add_f16_e32 v18, v45, v18
	v_fmamk_f16 v45, v10, 0xb8d2, v37
	v_add_f16_e32 v25, v47, v25
	v_mul_f16_e32 v47, 0xb5c8, v11
	v_add_f16_e32 v38, v51, v38
	v_mul_f16_e32 v51, 0xb5c8, v13
	v_fma_f16 v37, v10, 0xb8d2, -v37
	v_add_f16_e32 v34, v43, v34
	v_fma_f16 v43, v12, 0xb8d2, -v50
	v_add_f16_e32 v22, v31, v22
	;; [unrolled: 2-line block ×3, first 2 shown]
	v_fmamk_f16 v39, v10, 0x3b76, v51
	v_add_f16_e32 v20, v20, v42
	v_mul_f16_e32 v42, 0xb1e1, v11
	v_add_f16_e32 v33, v37, v33
	v_mul_f16_e32 v37, 0x3964, v11
	v_fmac_f16_e32 v50, 0xb8d2, v12
	v_fmac_f16_e32 v47, 0x3b76, v12
	v_add_f16_e32 v4, v43, v4
	v_mul_f16_e32 v43, 0xb1e1, v13
	v_add_f16_e32 v35, v45, v35
	v_fma_f16 v45, v12, 0xbbdd, -v42
	v_fmac_f16_e32 v42, 0xbbdd, v12
	v_add_f16_e32 v31, v31, v40
	v_mul_f16_e32 v40, 0x3964, v13
	v_add_f16_e32 v30, v39, v30
	v_fma_f16 v39, v12, 0x39e9, -v37
	v_fmac_f16_e32 v37, 0x39e9, v12
	v_pack_b32_f16 v12, v13, v12
	v_fma_f16 v51, v10, 0x3b76, -v51
	v_add_f16_e32 v28, v50, v28
	v_fmamk_f16 v50, v10, 0xbbdd, v43
	v_fma_f16 v43, v10, 0xbbdd, -v43
	v_add_f16_e32 v44, v47, v44
	v_fmamk_f16 v47, v10, 0x39e9, v40
	v_fma_f16 v40, v10, 0x39e9, -v40
	v_pack_b32_f16 v10, v10, v11
	v_pk_mul_f16 v11, 0xb461bbb2, v12
	v_add_f16_e32 v26, v51, v26
	v_mul_f16_e32 v51, 0xb1e1, v8
	v_add_f16_e32 v19, v47, v19
	v_add_f16_e32 v45, v45, v46
	v_pk_fma_f16 v47, 0xbbb2b461, v10, v11 neg_lo:[0,1,0] neg_hi:[0,1,0]
	v_mul_f16_e32 v46, 0xb1e1, v9
	v_add_f16_e32 v48, v50, v48
	v_fma_f16 v50, v7, 0xbbdd, -v51
	v_add_f16_e32 v43, v43, v49
	v_mul_f16_e32 v49, 0x35c8, v9
	v_add_f16_e32 v23, v40, v23
	v_pk_add_f16 v24, v47, v24
	v_pk_fma_f16 v40, 0xbbb2b461, v10, v11
	v_mul_f16_e32 v47, 0xb836, v9
	v_pk_fma_f16 v10, 0xbbb2b461, v10, v11 neg_lo:[0,0,1] neg_hi:[0,0,1]
	v_add_f16_e32 v41, v42, v41
	v_fmamk_f16 v42, v5, 0xbbdd, v46
	v_fmac_f16_e32 v51, 0xbbdd, v7
	v_mul_f16_e32 v13, 0x35c8, v8
	v_fma_f16 v46, v5, 0xbbdd, -v46
	v_add_f16_e32 v21, v39, v21
	v_fmamk_f16 v39, v5, 0x3b76, v49
	v_add_f16_e32 v29, v37, v29
	v_mul_f16_e32 v37, 0xb836, v8
	v_fma_f16 v49, v5, 0x3b76, -v49
	v_pk_add_f16 v27, v40, v27
	v_fmamk_f16 v40, v5, 0xbacd, v47
	v_pk_add_f16 v6, v10, v6
	v_mul_f16_e32 v10, 0x3964, v8
	v_add_f16_e32 v16, v50, v16
	v_mul_f16_e32 v50, 0x3964, v9
	v_fma_f16 v47, v5, 0xbacd, -v47
	v_fma_f16 v12, v7, 0x3b76, -v13
	;; [unrolled: 1-line block ×3, first 2 shown]
	v_add_f16_e32 v32, v42, v32
	v_fma_f16 v42, v7, 0x39e9, -v10
	v_add_f16_e32 v17, v51, v17
	v_fmamk_f16 v51, v5, 0x39e9, v50
	v_add_f16_e32 v36, v46, v36
	v_mul_f16_e32 v46, 0xba62, v8
	v_add_f16_e32 v25, v49, v25
	v_mul_f16_e32 v49, 0x3b29, v8
	;; [unrolled: 2-line block ×3, first 2 shown]
	v_fmac_f16_e32 v13, 0x3b76, v7
	v_fmac_f16_e32 v37, 0xbacd, v7
	;; [unrolled: 1-line block ×3, first 2 shown]
	v_add_f16_e32 v12, v12, v15
	v_mul_f16_e32 v15, 0xba62, v9
	v_add_f16_e32 v34, v39, v34
	v_fma_f16 v39, v7, 0xb8d2, -v46
	v_fmac_f16_e32 v46, 0xb8d2, v7
	v_add_f16_e32 v11, v11, v38
	v_mul_f16_e32 v38, 0x3b29, v9
	v_add_f16_e32 v22, v40, v22
	v_fma_f16 v40, v7, 0x3722, -v49
	v_fmac_f16_e32 v49, 0x3722, v7
	;; [unrolled: 5-line block ×3, first 2 shown]
	v_pack_b32_f16 v7, v9, v7
	v_fma_f16 v50, v5, 0x39e9, -v50
	v_add_f16_e32 v13, v13, v18
	v_fmamk_f16 v18, v5, 0xb8d2, v15
	v_fma_f16 v15, v5, 0xb8d2, -v15
	v_add_f16_e32 v14, v37, v14
	v_fmamk_f16 v37, v5, 0x3722, v38
	v_fma_f16 v38, v5, 0x3722, -v38
	v_add_f16_e32 v10, v10, v28
	v_fmamk_f16 v28, v5, 0xb461, v42
	v_fma_f16 v42, v5, 0xb461, -v42
	v_pack_b32_f16 v5, v5, v8
	v_pk_mul_f16 v7, 0x2de83bf7, v7
	v_add_f16_e32 v15, v15, v26
	v_add_f16_e32 v26, v37, v48
	v_add_f16_e32 v37, v38, v43
	v_add_f16_e32 v19, v28, v19
	v_pk_fma_f16 v38, 0x3bf72de8, v5, v7 neg_lo:[0,1,0] neg_hi:[0,1,0]
	v_add_f16_e32 v28, v47, v29
	v_mul_u32_u24_e32 v29, 0x223, v0
	v_add_f16_e32 v31, v39, v31
	v_add_f16_e32 v9, v18, v30
	v_pk_add_f16 v24, v38, v24
	v_pk_fma_f16 v38, 0x3bf72de8, v5, v7
	v_pk_fma_f16 v5, 0x3bf72de8, v5, v7 neg_lo:[0,0,1] neg_hi:[0,0,1]
	v_pack_b32_f16 v7, v12, v34
	v_pack_b32_f16 v12, v16, v32
	v_lshrrev_b32_e32 v16, 16, v29
	v_add_f16_e32 v8, v40, v45
	v_pk_add_f16 v5, v5, v6
	v_add_f16_e32 v21, v51, v21
	v_pack_b32_f16 v4, v4, v35
	v_mul_lo_u16 v6, 0x78, v16
	v_pack_b32_f16 v11, v11, v22
	s_barrier
	buffer_gl0_inv
	v_sub_nc_u16 v6, v0, v6
	v_pk_add_f16 v22, v38, v27
	ds_write2_b32 v1, v12, v7 offset0:1 offset1:2
	ds_write2_b32 v1, v11, v4 offset0:3 offset1:4
	v_pack_b32_f16 v7, v8, v26
	v_pack_b32_f16 v8, v31, v9
	;; [unrolled: 1-line block ×3, first 2 shown]
	v_and_b32_e32 v21, 0xffff, v6
	v_add_f16_e32 v30, v49, v41
	v_add_f16_e32 v23, v42, v23
	;; [unrolled: 1-line block ×4, first 2 shown]
	v_alignbit_b32 v11, v5, v22, 16
	v_mad_u64_u32 v[4:5], null, s16, v21, 0
	v_alignbit_b32 v12, v22, v24, 16
	v_pack_b32_f16 v19, v30, v37
	v_pack_b32_f16 v22, v28, v23
	;; [unrolled: 1-line block ×4, first 2 shown]
	ds_write2_b32 v1, v8, v7 offset0:5 offset1:6
	ds_write2_b32 v1, v3, v9 offset1:7
	ds_write2_b32 v1, v12, v11 offset0:8 offset1:9
	ds_write2_b32 v1, v22, v19 offset0:10 offset1:11
	;; [unrolled: 1-line block ×3, first 2 shown]
	v_mul_lo_u16 v10, v6, 18
	v_mov_b32_e32 v11, 2
	v_mov_b32_e32 v3, v5
	v_pack_b32_f16 v7, v13, v25
	v_pack_b32_f16 v8, v14, v20
	v_lshlrev_b32_e32 v15, 2, v16
	v_lshlrev_b32_sdwa v14, v11, v10 dst_sel:DWORD dst_unused:UNUSED_PAD src0_sel:DWORD src1_sel:WORD_0
	v_pack_b32_f16 v9, v17, v36
	v_mad_u64_u32 v[5:6], null, s17, v21, v[3:4]
	ds_write2_b32 v1, v8, v7 offset0:14 offset1:15
	ds_write_b32 v1, v9 offset:64
	v_add3_u32 v3, 0, v14, v15
	v_mul_lo_u32 v1, s12, v16
	s_waitcnt lgkmcnt(0)
	s_barrier
	buffer_gl0_inv
	ds_read2_b32 v[6:7], v3 offset1:1
	v_lshlrev_b64 v[3:4], 2, v[4:5]
	v_add3_u32 v5, 0, v15, v14
	v_lshlrev_b64 v[8:9], 2, v[1:2]
	v_add_nc_u32_e32 v1, s12, v1
	v_add_co_u32 v3, vcc_lo, s0, v3
	v_add_co_ci_u32_e32 v4, vcc_lo, s1, v4, vcc_lo
	v_lshlrev_b64 v[10:11], 2, v[1:2]
	v_add_nc_u32_e32 v1, s12, v1
	v_add_co_u32 v8, vcc_lo, v3, v8
	v_add_co_ci_u32_e32 v9, vcc_lo, v4, v9, vcc_lo
	v_add_co_u32 v10, vcc_lo, v3, v10
	v_lshlrev_b64 v[12:13], 2, v[1:2]
	v_add_co_ci_u32_e32 v11, vcc_lo, v4, v11, vcc_lo
	v_add_nc_u32_e32 v1, s12, v1
	s_waitcnt lgkmcnt(0)
	global_store_dword v[8:9], v6, off
	s_mov_b32 s0, exec_lo
	v_add_co_u32 v8, vcc_lo, v3, v12
	global_store_dword v[10:11], v7, off
	v_lshlrev_b64 v[6:7], 2, v[1:2]
	v_add_nc_u32_e32 v1, s12, v1
	v_add_co_ci_u32_e32 v9, vcc_lo, v4, v13, vcc_lo
	ds_read2_b32 v[10:11], v5 offset0:2 offset1:3
	ds_read2_b32 v[12:13], v5 offset0:4 offset1:5
	;; [unrolled: 1-line block ×4, first 2 shown]
	v_lshlrev_b64 v[14:15], 2, v[1:2]
	v_add_nc_u32_e32 v1, s12, v1
	v_add_co_u32 v6, vcc_lo, v3, v6
	v_add_co_ci_u32_e32 v7, vcc_lo, v4, v7, vcc_lo
	v_lshlrev_b64 v[16:17], 2, v[1:2]
	v_add_nc_u32_e32 v1, s12, v1
	v_add_co_u32 v14, vcc_lo, v3, v14
	v_add_co_ci_u32_e32 v15, vcc_lo, v4, v15, vcc_lo
	;; [unrolled: 4-line block ×3, first 2 shown]
	s_waitcnt lgkmcnt(3)
	global_store_dword v[8:9], v10, off
	global_store_dword v[6:7], v11, off
	s_waitcnt lgkmcnt(2)
	global_store_dword v[14:15], v12, off
	global_store_dword v[16:17], v13, off
	v_lshlrev_b64 v[6:7], 2, v[1:2]
	v_add_nc_u32_e32 v1, s12, v1
	v_add_co_u32 v8, vcc_lo, v3, v18
	v_add_co_ci_u32_e32 v9, vcc_lo, v4, v19, vcc_lo
	v_lshlrev_b64 v[10:11], 2, v[1:2]
	v_add_nc_u32_e32 v1, s12, v1
	v_add_co_u32 v6, vcc_lo, v3, v6
	v_add_co_ci_u32_e32 v7, vcc_lo, v4, v7, vcc_lo
	v_lshlrev_b64 v[12:13], 2, v[1:2]
	v_add_co_u32 v10, vcc_lo, v3, v10
	v_add_co_ci_u32_e32 v11, vcc_lo, v4, v11, vcc_lo
	v_add_nc_u32_e32 v1, s12, v1
	v_add_co_u32 v12, vcc_lo, v3, v12
	v_add_co_ci_u32_e32 v13, vcc_lo, v4, v13, vcc_lo
	v_lshlrev_b64 v[14:15], 2, v[1:2]
	v_add_nc_u32_e32 v1, s12, v1
	s_waitcnt lgkmcnt(1)
	global_store_dword v[8:9], v20, off
	global_store_dword v[6:7], v21, off
	s_waitcnt lgkmcnt(0)
	global_store_dword v[10:11], v22, off
	global_store_dword v[12:13], v23, off
	ds_read2_b32 v[8:9], v5 offset0:10 offset1:11
	ds_read2_b32 v[10:11], v5 offset0:12 offset1:13
	ds_read2_b32 v[18:19], v5 offset0:14 offset1:15
	ds_read_b32 v20, v5 offset:64
	v_lshlrev_b64 v[6:7], 2, v[1:2]
	v_add_nc_u32_e32 v1, s12, v1
	v_add_co_u32 v12, vcc_lo, v3, v14
	v_add_co_ci_u32_e32 v13, vcc_lo, v4, v15, vcc_lo
	v_lshlrev_b64 v[14:15], 2, v[1:2]
	v_add_nc_u32_e32 v1, s12, v1
	v_add_co_u32 v6, vcc_lo, v3, v6
	v_add_co_ci_u32_e32 v7, vcc_lo, v4, v7, vcc_lo
	v_add_co_u32 v14, vcc_lo, v3, v14
	v_lshlrev_b64 v[16:17], 2, v[1:2]
	v_add_nc_u32_e32 v1, s12, v1
	v_add_co_ci_u32_e32 v15, vcc_lo, v4, v15, vcc_lo
	s_waitcnt lgkmcnt(3)
	global_store_dword v[12:13], v8, off
	global_store_dword v[6:7], v9, off
	s_waitcnt lgkmcnt(2)
	global_store_dword v[14:15], v10, off
	v_lshlrev_b64 v[6:7], 2, v[1:2]
	v_add_nc_u32_e32 v1, s12, v1
	v_add_co_u32 v8, vcc_lo, v3, v16
	v_add_co_ci_u32_e32 v9, vcc_lo, v4, v17, vcc_lo
	v_lshlrev_b64 v[12:13], 2, v[1:2]
	v_add_nc_u32_e32 v1, s12, v1
	v_add_co_u32 v6, vcc_lo, v3, v6
	v_add_co_ci_u32_e32 v7, vcc_lo, v4, v7, vcc_lo
	v_lshlrev_b64 v[14:15], 2, v[1:2]
	v_add_co_u32 v12, vcc_lo, v3, v12
	v_add_co_ci_u32_e32 v13, vcc_lo, v4, v13, vcc_lo
	v_add_co_u32 v14, vcc_lo, v3, v14
	v_add_co_ci_u32_e32 v15, vcc_lo, v4, v15, vcc_lo
	global_store_dword v[8:9], v11, off
	s_waitcnt lgkmcnt(1)
	global_store_dword v[6:7], v18, off
	global_store_dword v[12:13], v19, off
	s_waitcnt lgkmcnt(0)
	global_store_dword v[14:15], v20, off
	v_cmpx_gt_u32_e32 0x78, v0
	s_cbranch_execz .LBB0_2
; %bb.1:
	ds_read_b32 v5, v5 offset:68
	v_add_nc_u32_e32 v1, s12, v1
	v_lshlrev_b64 v[0:1], 2, v[1:2]
	v_add_co_u32 v0, vcc_lo, v3, v0
	v_add_co_ci_u32_e32 v1, vcc_lo, v4, v1, vcc_lo
	s_waitcnt lgkmcnt(0)
	global_store_dword v[0:1], v5, off
.LBB0_2:
	s_endpgm
	.section	.rodata,"a",@progbits
	.p2align	6, 0x0
	.amdhsa_kernel fft_rtc_fwd_len17_factors_17_wgs_120_tpt_1_half_op_CI_CI_sbrc_erc_z_xy_aligned
		.amdhsa_group_segment_fixed_size 0
		.amdhsa_private_segment_fixed_size 0
		.amdhsa_kernarg_size 104
		.amdhsa_user_sgpr_count 6
		.amdhsa_user_sgpr_private_segment_buffer 1
		.amdhsa_user_sgpr_dispatch_ptr 0
		.amdhsa_user_sgpr_queue_ptr 0
		.amdhsa_user_sgpr_kernarg_segment_ptr 1
		.amdhsa_user_sgpr_dispatch_id 0
		.amdhsa_user_sgpr_flat_scratch_init 0
		.amdhsa_user_sgpr_private_segment_size 0
		.amdhsa_wavefront_size32 1
		.amdhsa_uses_dynamic_stack 0
		.amdhsa_system_sgpr_private_segment_wavefront_offset 0
		.amdhsa_system_sgpr_workgroup_id_x 1
		.amdhsa_system_sgpr_workgroup_id_y 0
		.amdhsa_system_sgpr_workgroup_id_z 0
		.amdhsa_system_sgpr_workgroup_info 0
		.amdhsa_system_vgpr_workitem_id 0
		.amdhsa_next_free_vgpr 76
		.amdhsa_next_free_sgpr 27
		.amdhsa_reserve_vcc 1
		.amdhsa_reserve_flat_scratch 0
		.amdhsa_float_round_mode_32 0
		.amdhsa_float_round_mode_16_64 0
		.amdhsa_float_denorm_mode_32 3
		.amdhsa_float_denorm_mode_16_64 3
		.amdhsa_dx10_clamp 1
		.amdhsa_ieee_mode 1
		.amdhsa_fp16_overflow 0
		.amdhsa_workgroup_processor_mode 1
		.amdhsa_memory_ordered 1
		.amdhsa_forward_progress 0
		.amdhsa_shared_vgpr_count 0
		.amdhsa_exception_fp_ieee_invalid_op 0
		.amdhsa_exception_fp_denorm_src 0
		.amdhsa_exception_fp_ieee_div_zero 0
		.amdhsa_exception_fp_ieee_overflow 0
		.amdhsa_exception_fp_ieee_underflow 0
		.amdhsa_exception_fp_ieee_inexact 0
		.amdhsa_exception_int_div_zero 0
	.end_amdhsa_kernel
	.text
.Lfunc_end0:
	.size	fft_rtc_fwd_len17_factors_17_wgs_120_tpt_1_half_op_CI_CI_sbrc_erc_z_xy_aligned, .Lfunc_end0-fft_rtc_fwd_len17_factors_17_wgs_120_tpt_1_half_op_CI_CI_sbrc_erc_z_xy_aligned
                                        ; -- End function
	.section	.AMDGPU.csdata,"",@progbits
; Kernel info:
; codeLenInByte = 9600
; NumSgprs: 29
; NumVgprs: 76
; ScratchSize: 0
; MemoryBound: 0
; FloatMode: 240
; IeeeMode: 1
; LDSByteSize: 0 bytes/workgroup (compile time only)
; SGPRBlocks: 3
; VGPRBlocks: 9
; NumSGPRsForWavesPerEU: 29
; NumVGPRsForWavesPerEU: 76
; Occupancy: 12
; WaveLimiterHint : 1
; COMPUTE_PGM_RSRC2:SCRATCH_EN: 0
; COMPUTE_PGM_RSRC2:USER_SGPR: 6
; COMPUTE_PGM_RSRC2:TRAP_HANDLER: 0
; COMPUTE_PGM_RSRC2:TGID_X_EN: 1
; COMPUTE_PGM_RSRC2:TGID_Y_EN: 0
; COMPUTE_PGM_RSRC2:TGID_Z_EN: 0
; COMPUTE_PGM_RSRC2:TIDIG_COMP_CNT: 0
	.text
	.p2alignl 6, 3214868480
	.fill 48, 4, 3214868480
	.type	__hip_cuid_23aee0c6df73b6e2,@object ; @__hip_cuid_23aee0c6df73b6e2
	.section	.bss,"aw",@nobits
	.globl	__hip_cuid_23aee0c6df73b6e2
__hip_cuid_23aee0c6df73b6e2:
	.byte	0                               ; 0x0
	.size	__hip_cuid_23aee0c6df73b6e2, 1

	.ident	"AMD clang version 19.0.0git (https://github.com/RadeonOpenCompute/llvm-project roc-6.4.0 25133 c7fe45cf4b819c5991fe208aaa96edf142730f1d)"
	.section	".note.GNU-stack","",@progbits
	.addrsig
	.addrsig_sym __hip_cuid_23aee0c6df73b6e2
	.amdgpu_metadata
---
amdhsa.kernels:
  - .args:
      - .actual_access:  read_only
        .address_space:  global
        .offset:         0
        .size:           8
        .value_kind:     global_buffer
      - .offset:         8
        .size:           8
        .value_kind:     by_value
      - .actual_access:  read_only
        .address_space:  global
        .offset:         16
        .size:           8
        .value_kind:     global_buffer
      - .actual_access:  read_only
        .address_space:  global
        .offset:         24
        .size:           8
        .value_kind:     global_buffer
      - .actual_access:  read_only
        .address_space:  global
        .offset:         32
        .size:           8
        .value_kind:     global_buffer
      - .offset:         40
        .size:           8
        .value_kind:     by_value
      - .actual_access:  read_only
        .address_space:  global
        .offset:         48
        .size:           8
        .value_kind:     global_buffer
      - .actual_access:  read_only
        .address_space:  global
        .offset:         56
        .size:           8
        .value_kind:     global_buffer
      - .offset:         64
        .size:           4
        .value_kind:     by_value
      - .actual_access:  read_only
        .address_space:  global
        .offset:         72
        .size:           8
        .value_kind:     global_buffer
      - .actual_access:  read_only
        .address_space:  global
        .offset:         80
        .size:           8
        .value_kind:     global_buffer
      - .actual_access:  read_only
        .address_space:  global
        .offset:         88
        .size:           8
        .value_kind:     global_buffer
      - .actual_access:  write_only
        .address_space:  global
        .offset:         96
        .size:           8
        .value_kind:     global_buffer
    .group_segment_fixed_size: 0
    .kernarg_segment_align: 8
    .kernarg_segment_size: 104
    .language:       OpenCL C
    .language_version:
      - 2
      - 0
    .max_flat_workgroup_size: 120
    .name:           fft_rtc_fwd_len17_factors_17_wgs_120_tpt_1_half_op_CI_CI_sbrc_erc_z_xy_aligned
    .private_segment_fixed_size: 0
    .sgpr_count:     29
    .sgpr_spill_count: 0
    .symbol:         fft_rtc_fwd_len17_factors_17_wgs_120_tpt_1_half_op_CI_CI_sbrc_erc_z_xy_aligned.kd
    .uniform_work_group_size: 1
    .uses_dynamic_stack: false
    .vgpr_count:     76
    .vgpr_spill_count: 0
    .wavefront_size: 32
    .workgroup_processor_mode: 1
amdhsa.target:   amdgcn-amd-amdhsa--gfx1030
amdhsa.version:
  - 1
  - 2
...

	.end_amdgpu_metadata
